;; amdgpu-corpus repo=ROCm/rocFFT kind=compiled arch=gfx906 opt=O3
	.text
	.amdgcn_target "amdgcn-amd-amdhsa--gfx906"
	.amdhsa_code_object_version 6
	.protected	fft_rtc_back_len17_factors_17_wgs_120_tpt_1_dp_ip_CI_unitstride_sbrr_dirReg ; -- Begin function fft_rtc_back_len17_factors_17_wgs_120_tpt_1_dp_ip_CI_unitstride_sbrr_dirReg
	.globl	fft_rtc_back_len17_factors_17_wgs_120_tpt_1_dp_ip_CI_unitstride_sbrr_dirReg
	.p2align	8
	.type	fft_rtc_back_len17_factors_17_wgs_120_tpt_1_dp_ip_CI_unitstride_sbrr_dirReg,@function
fft_rtc_back_len17_factors_17_wgs_120_tpt_1_dp_ip_CI_unitstride_sbrr_dirReg: ; @fft_rtc_back_len17_factors_17_wgs_120_tpt_1_dp_ip_CI_unitstride_sbrr_dirReg
; %bb.0:
	s_load_dwordx2 s[8:9], s[4:5], 0x8
	s_load_dwordx2 s[2:3], s[4:5], 0x50
	;; [unrolled: 1-line block ×3, first 2 shown]
	s_mulk_i32 s6, 0x78
	v_add_u32_e32 v4, s6, v0
	s_waitcnt lgkmcnt(0)
	v_cmp_lt_u64_e64 s[0:1], s[8:9], 2
	v_mov_b32_e32 v2, 0
	v_mov_b32_e32 v0, 0
	v_mov_b32_e32 v5, v2
	s_and_b64 vcc, exec, s[0:1]
	v_mov_b32_e32 v1, 0
	s_cbranch_vccnz .LBB0_8
; %bb.1:
	s_load_dwordx2 s[0:1], s[4:5], 0x10
	s_add_u32 s6, s10, 8
	s_addc_u32 s7, s11, 0
	v_mov_b32_e32 v0, 0
	v_mov_b32_e32 v1, 0
	s_waitcnt lgkmcnt(0)
	s_add_u32 s12, s0, 8
	s_addc_u32 s13, s1, 0
	s_mov_b64 s[14:15], 1
.LBB0_2:                                ; =>This Inner Loop Header: Depth=1
	s_load_dwordx2 s[16:17], s[12:13], 0x0
                                        ; implicit-def: $vgpr6_vgpr7
	s_waitcnt lgkmcnt(0)
	v_or_b32_e32 v3, s17, v5
	v_cmp_ne_u64_e32 vcc, 0, v[2:3]
	s_and_saveexec_b64 s[0:1], vcc
	s_xor_b64 s[18:19], exec, s[0:1]
	s_cbranch_execz .LBB0_4
; %bb.3:                                ;   in Loop: Header=BB0_2 Depth=1
	v_cvt_f32_u32_e32 v3, s16
	v_cvt_f32_u32_e32 v6, s17
	s_sub_u32 s0, 0, s16
	s_subb_u32 s1, 0, s17
	v_mac_f32_e32 v3, 0x4f800000, v6
	v_rcp_f32_e32 v3, v3
	v_mul_f32_e32 v3, 0x5f7ffffc, v3
	v_mul_f32_e32 v6, 0x2f800000, v3
	v_trunc_f32_e32 v6, v6
	v_mac_f32_e32 v3, 0xcf800000, v6
	v_cvt_u32_f32_e32 v6, v6
	v_cvt_u32_f32_e32 v3, v3
	v_mul_lo_u32 v7, s0, v6
	v_mul_hi_u32 v8, s0, v3
	v_mul_lo_u32 v10, s1, v3
	v_mul_lo_u32 v9, s0, v3
	v_add_u32_e32 v7, v8, v7
	v_add_u32_e32 v7, v7, v10
	v_mul_hi_u32 v8, v3, v9
	v_mul_lo_u32 v10, v3, v7
	v_mul_hi_u32 v12, v3, v7
	v_mul_hi_u32 v11, v6, v9
	v_mul_lo_u32 v9, v6, v9
	v_mul_hi_u32 v13, v6, v7
	v_add_co_u32_e32 v8, vcc, v8, v10
	v_addc_co_u32_e32 v10, vcc, 0, v12, vcc
	v_mul_lo_u32 v7, v6, v7
	v_add_co_u32_e32 v8, vcc, v8, v9
	v_addc_co_u32_e32 v8, vcc, v10, v11, vcc
	v_addc_co_u32_e32 v9, vcc, 0, v13, vcc
	v_add_co_u32_e32 v7, vcc, v8, v7
	v_addc_co_u32_e32 v8, vcc, 0, v9, vcc
	v_add_co_u32_e32 v3, vcc, v3, v7
	v_addc_co_u32_e32 v6, vcc, v6, v8, vcc
	v_mul_lo_u32 v7, s0, v6
	v_mul_hi_u32 v8, s0, v3
	v_mul_lo_u32 v9, s1, v3
	v_mul_lo_u32 v10, s0, v3
	v_add_u32_e32 v7, v8, v7
	v_add_u32_e32 v7, v7, v9
	v_mul_lo_u32 v11, v3, v7
	v_mul_hi_u32 v12, v3, v10
	v_mul_hi_u32 v13, v3, v7
	;; [unrolled: 1-line block ×3, first 2 shown]
	v_mul_lo_u32 v10, v6, v10
	v_mul_hi_u32 v8, v6, v7
	v_add_co_u32_e32 v11, vcc, v12, v11
	v_addc_co_u32_e32 v12, vcc, 0, v13, vcc
	v_mul_lo_u32 v7, v6, v7
	v_add_co_u32_e32 v10, vcc, v11, v10
	v_addc_co_u32_e32 v9, vcc, v12, v9, vcc
	v_addc_co_u32_e32 v8, vcc, 0, v8, vcc
	v_add_co_u32_e32 v7, vcc, v9, v7
	v_addc_co_u32_e32 v8, vcc, 0, v8, vcc
	v_add_co_u32_e32 v3, vcc, v3, v7
	v_addc_co_u32_e32 v8, vcc, v6, v8, vcc
	v_mad_u64_u32 v[6:7], s[0:1], v4, v8, 0
	v_mul_hi_u32 v9, v4, v3
	v_add_co_u32_e32 v10, vcc, v9, v6
	v_addc_co_u32_e32 v11, vcc, 0, v7, vcc
	v_mad_u64_u32 v[6:7], s[0:1], v5, v3, 0
	v_mad_u64_u32 v[8:9], s[0:1], v5, v8, 0
	v_add_co_u32_e32 v3, vcc, v10, v6
	v_addc_co_u32_e32 v3, vcc, v11, v7, vcc
	v_addc_co_u32_e32 v6, vcc, 0, v9, vcc
	v_add_co_u32_e32 v3, vcc, v3, v8
	v_addc_co_u32_e32 v8, vcc, 0, v6, vcc
	v_mul_lo_u32 v9, s17, v3
	v_mul_lo_u32 v10, s16, v8
	v_mad_u64_u32 v[6:7], s[0:1], s16, v3, 0
	v_add3_u32 v7, v7, v10, v9
	v_sub_u32_e32 v9, v5, v7
	v_mov_b32_e32 v10, s17
	v_sub_co_u32_e32 v6, vcc, v4, v6
	v_subb_co_u32_e64 v9, s[0:1], v9, v10, vcc
	v_subrev_co_u32_e64 v10, s[0:1], s16, v6
	v_subbrev_co_u32_e64 v9, s[0:1], 0, v9, s[0:1]
	v_cmp_le_u32_e64 s[0:1], s17, v9
	v_cndmask_b32_e64 v11, 0, -1, s[0:1]
	v_cmp_le_u32_e64 s[0:1], s16, v10
	v_cndmask_b32_e64 v10, 0, -1, s[0:1]
	v_cmp_eq_u32_e64 s[0:1], s17, v9
	v_cndmask_b32_e64 v9, v11, v10, s[0:1]
	v_add_co_u32_e64 v10, s[0:1], 2, v3
	v_addc_co_u32_e64 v11, s[0:1], 0, v8, s[0:1]
	v_add_co_u32_e64 v12, s[0:1], 1, v3
	v_addc_co_u32_e64 v13, s[0:1], 0, v8, s[0:1]
	v_subb_co_u32_e32 v7, vcc, v5, v7, vcc
	v_cmp_ne_u32_e64 s[0:1], 0, v9
	v_cmp_le_u32_e32 vcc, s17, v7
	v_cndmask_b32_e64 v9, v13, v11, s[0:1]
	v_cndmask_b32_e64 v11, 0, -1, vcc
	v_cmp_le_u32_e32 vcc, s16, v6
	v_cndmask_b32_e64 v6, 0, -1, vcc
	v_cmp_eq_u32_e32 vcc, s17, v7
	v_cndmask_b32_e32 v6, v11, v6, vcc
	v_cmp_ne_u32_e32 vcc, 0, v6
	v_cndmask_b32_e64 v6, v12, v10, s[0:1]
	v_cndmask_b32_e32 v7, v8, v9, vcc
	v_cndmask_b32_e32 v6, v3, v6, vcc
.LBB0_4:                                ;   in Loop: Header=BB0_2 Depth=1
	s_andn2_saveexec_b64 s[0:1], s[18:19]
	s_cbranch_execz .LBB0_6
; %bb.5:                                ;   in Loop: Header=BB0_2 Depth=1
	v_cvt_f32_u32_e32 v3, s16
	s_sub_i32 s18, 0, s16
	v_rcp_iflag_f32_e32 v3, v3
	v_mul_f32_e32 v3, 0x4f7ffffe, v3
	v_cvt_u32_f32_e32 v3, v3
	v_mul_lo_u32 v6, s18, v3
	v_mul_hi_u32 v6, v3, v6
	v_add_u32_e32 v3, v3, v6
	v_mul_hi_u32 v3, v4, v3
	v_mul_lo_u32 v6, v3, s16
	v_add_u32_e32 v7, 1, v3
	v_sub_u32_e32 v6, v4, v6
	v_subrev_u32_e32 v8, s16, v6
	v_cmp_le_u32_e32 vcc, s16, v6
	v_cndmask_b32_e32 v6, v6, v8, vcc
	v_cndmask_b32_e32 v3, v3, v7, vcc
	v_add_u32_e32 v7, 1, v3
	v_cmp_le_u32_e32 vcc, s16, v6
	v_cndmask_b32_e32 v6, v3, v7, vcc
	v_mov_b32_e32 v7, v2
.LBB0_6:                                ;   in Loop: Header=BB0_2 Depth=1
	s_or_b64 exec, exec, s[0:1]
	v_mul_lo_u32 v3, v7, s16
	v_mul_lo_u32 v10, v6, s17
	v_mad_u64_u32 v[8:9], s[0:1], v6, s16, 0
	s_load_dwordx2 s[0:1], s[6:7], 0x0
	s_add_u32 s14, s14, 1
	v_add3_u32 v3, v9, v10, v3
	v_sub_co_u32_e32 v4, vcc, v4, v8
	v_subb_co_u32_e32 v3, vcc, v5, v3, vcc
	s_waitcnt lgkmcnt(0)
	v_mul_lo_u32 v3, s0, v3
	v_mul_lo_u32 v5, s1, v4
	v_mad_u64_u32 v[0:1], s[0:1], s0, v4, v[0:1]
	s_addc_u32 s15, s15, 0
	s_add_u32 s6, s6, 8
	v_add3_u32 v1, v5, v1, v3
	v_mov_b32_e32 v3, s8
	v_mov_b32_e32 v4, s9
	s_addc_u32 s7, s7, 0
	v_cmp_ge_u64_e32 vcc, s[14:15], v[3:4]
	s_add_u32 s12, s12, 8
	s_addc_u32 s13, s13, 0
	s_cbranch_vccnz .LBB0_9
; %bb.7:                                ;   in Loop: Header=BB0_2 Depth=1
	v_mov_b32_e32 v4, v6
	v_mov_b32_e32 v5, v7
	s_branch .LBB0_2
.LBB0_8:
	v_mov_b32_e32 v7, v5
	v_mov_b32_e32 v6, v4
.LBB0_9:
	s_lshl_b64 s[0:1], s[8:9], 3
	s_add_u32 s0, s10, s0
	s_addc_u32 s1, s11, s1
	s_load_dwordx2 s[6:7], s[0:1], 0x0
	s_load_dwordx2 s[8:9], s[4:5], 0x20
                                        ; implicit-def: $vgpr14_vgpr15
                                        ; implicit-def: $vgpr18_vgpr19
                                        ; implicit-def: $vgpr38_vgpr39
                                        ; implicit-def: $vgpr42_vgpr43
                                        ; implicit-def: $vgpr50_vgpr51
                                        ; implicit-def: $vgpr22_vgpr23
                                        ; implicit-def: $vgpr10_vgpr11
                                        ; implicit-def: $vgpr54_vgpr55
                                        ; implicit-def: $vgpr66_vgpr67
                                        ; implicit-def: $vgpr46_vgpr47
                                        ; implicit-def: $vgpr58_vgpr59
                                        ; implicit-def: $vgpr62_vgpr63
                                        ; implicit-def: $vgpr26_vgpr27
                                        ; implicit-def: $vgpr34_vgpr35
                                        ; implicit-def: $vgpr30_vgpr31
	s_waitcnt lgkmcnt(0)
	v_mul_lo_u32 v2, s6, v7
	v_mul_lo_u32 v3, s7, v6
	v_mad_u64_u32 v[0:1], s[0:1], s6, v6, v[0:1]
	v_cmp_gt_u64_e32 vcc, s[8:9], v[6:7]
                                        ; implicit-def: $vgpr6_vgpr7
	v_add3_u32 v1, v3, v1, v2
	v_lshlrev_b64 v[68:69], 4, v[0:1]
                                        ; implicit-def: $vgpr2_vgpr3
	s_and_saveexec_b64 s[4:5], vcc
	s_cbranch_execnz .LBB0_12
; %bb.10:
	s_or_b64 exec, exec, s[4:5]
	s_and_saveexec_b64 s[0:1], vcc
	s_cbranch_execnz .LBB0_13
.LBB0_11:
	s_endpgm
.LBB0_12:
	v_mov_b32_e32 v0, s3
	v_add_co_u32_e64 v70, s[0:1], s2, v68
	v_addc_co_u32_e64 v71, s[0:1], v0, v69, s[0:1]
	global_load_dwordx4 v[24:27], v[70:71], off offset:48
	global_load_dwordx4 v[32:35], v[70:71], off offset:32
	;; [unrolled: 1-line block ×3, first 2 shown]
	global_load_dwordx4 v[0:3], v[70:71], off
	global_load_dwordx4 v[4:7], v[70:71], off offset:112
	global_load_dwordx4 v[44:47], v[70:71], off offset:96
	;; [unrolled: 1-line block ×13, first 2 shown]
	s_or_b64 exec, exec, s[4:5]
	s_and_saveexec_b64 s[0:1], vcc
	s_cbranch_execz .LBB0_11
.LBB0_13:
	s_waitcnt vmcnt(13)
	v_add_f64 v[72:73], v[30:31], v[2:3]
	v_add_f64 v[78:79], v[28:29], v[0:1]
	s_waitcnt vmcnt(3)
	v_add_f64 v[112:113], v[24:25], -v[36:37]
	s_waitcnt vmcnt(1)
	v_add_f64 v[100:101], v[56:57], -v[48:49]
	v_add_f64 v[96:97], v[48:49], v[56:57]
	v_add_f64 v[106:107], v[60:61], -v[40:41]
	v_add_f64 v[86:87], v[4:5], -v[8:9]
	v_add_f64 v[80:81], v[8:9], v[4:5]
	v_add_f64 v[84:85], v[34:35], v[72:73]
	;; [unrolled: 1-line block ×3, first 2 shown]
	s_waitcnt vmcnt(0)
	v_add_f64 v[120:121], v[28:29], -v[12:13]
	s_mov_b32 s0, 0xacd6c6b4
	s_mov_b32 s1, 0xbfc7851a
	v_add_f64 v[114:115], v[32:33], -v[16:17]
	s_mov_b32 s10, 0x5d8e7cdc
	s_mov_b32 s4, 0x7faef3
	v_add_f64 v[98:99], v[26:27], v[84:85]
	v_add_f64 v[102:103], v[24:25], v[88:89]
	s_mov_b32 s11, 0x3fd71e95
	s_mov_b32 s5, 0xbfef7484
	v_add_f64 v[82:83], v[22:23], v[46:47]
	v_add_f64 v[84:85], v[46:47], -v[22:23]
	s_mov_b32 s14, 0x370991
	s_mov_b32 s6, 0x4363dd80
	v_add_f64 v[104:105], v[62:63], v[98:99]
	v_add_f64 v[108:109], v[60:61], v[102:103]
	;; [unrolled: 1-line block ×4, first 2 shown]
	v_add_f64 v[60:61], v[62:63], -v[42:43]
	v_add_f64 v[62:63], v[38:39], v[26:27]
	s_mov_b32 s15, 0x3fedd6d0
	s_mov_b32 s7, 0xbfe0d888
	v_add_f64 v[116:117], v[58:59], v[104:105]
	v_add_f64 v[118:119], v[56:57], v[108:109]
	;; [unrolled: 1-line block ×3, first 2 shown]
	v_add_f64 v[56:57], v[26:27], -v[38:39]
	v_add_f64 v[104:105], v[18:19], v[34:35]
	v_add_f64 v[94:95], v[50:51], v[58:59]
	v_add_f64 v[88:89], v[58:59], -v[50:51]
	v_add_f64 v[110:111], v[16:17], v[32:33]
	v_add_f64 v[24:25], v[46:47], v[116:117]
	;; [unrolled: 1-line block ×5, first 2 shown]
	v_add_f64 v[46:47], v[30:31], -v[14:15]
	v_mul_f64 v[28:29], v[114:115], s[10:11]
	v_add_f64 v[58:59], v[34:35], -v[18:19]
	v_mul_f64 v[32:33], v[112:113], s[6:7]
	v_add_f64 v[24:25], v[6:7], v[24:25]
	v_add_f64 v[4:5], v[4:5], v[26:27]
	v_mul_f64 v[26:27], v[120:121], s[0:1]
	s_mov_b32 s8, 0x910ea3b9
	s_mov_b32 s26, 0x2a9d6da3
	v_fma_f64 v[34:35], v[104:105], s[14:15], v[28:29]
	s_mov_b32 s9, 0xbfeb34fa
	s_mov_b32 s27, 0x3fe58eea
	v_add_f64 v[24:25], v[66:67], v[24:25]
	v_add_f64 v[4:5], v[64:65], v[4:5]
	v_fma_f64 v[30:31], v[116:117], s[4:5], v[26:27]
	v_add_f64 v[76:77], v[64:65], -v[52:53]
	v_add_f64 v[74:75], v[52:53], v[64:65]
	v_add_f64 v[92:93], v[44:45], -v[20:21]
	v_add_f64 v[90:91], v[20:21], v[44:45]
	v_fma_f64 v[44:45], v[62:63], s[8:9], v[32:33]
	v_add_f64 v[24:25], v[54:55], v[24:25]
	v_add_f64 v[4:5], v[52:53], v[4:5]
	;; [unrolled: 1-line block ×3, first 2 shown]
	v_mul_f64 v[52:53], v[118:119], s[4:5]
	s_mov_b32 s22, 0x75d4884
	s_mov_b32 s12, 0x6c9a05f6
	s_mov_b32 s23, 0x3fe7a5f6
	s_mov_b32 s13, 0xbfe9895b
	v_add_f64 v[24:25], v[10:11], v[24:25]
	v_add_f64 v[4:5], v[8:9], v[4:5]
	v_mul_f64 v[8:9], v[106:107], s[26:27]
	s_mov_b32 s17, 0x3fc7851a
	s_mov_b32 s16, s0
	;; [unrolled: 1-line block ×5, first 2 shown]
	v_add_f64 v[22:23], v[22:23], v[24:25]
	v_add_f64 v[4:5], v[20:21], v[4:5]
	;; [unrolled: 1-line block ×3, first 2 shown]
	v_mul_f64 v[24:25], v[110:111], s[14:15]
	v_fma_f64 v[30:31], v[46:47], s[16:17], v[52:53]
	v_fma_f64 v[34:35], v[98:99], s[22:23], v[8:9]
	s_mov_b32 s25, 0xbfe348c8
	s_mov_b32 s38, 0x7c9e640b
	v_add_f64 v[22:23], v[50:51], v[22:23]
	v_add_f64 v[4:5], v[48:49], v[4:5]
	;; [unrolled: 1-line block ×3, first 2 shown]
	v_mul_f64 v[48:49], v[100:101], s[12:13]
	v_fma_f64 v[44:45], v[58:59], s[20:21], v[24:25]
	v_add_f64 v[30:31], v[0:1], v[30:31]
	v_mul_f64 v[50:51], v[108:109], s[8:9]
	s_mov_b32 s19, 0x3fe0d888
	v_add_f64 v[22:23], v[42:43], v[22:23]
	v_add_f64 v[4:5], v[40:41], v[4:5]
	;; [unrolled: 1-line block ×3, first 2 shown]
	v_fma_f64 v[34:35], v[94:95], s[24:25], v[48:49]
	s_mov_b32 s18, s6
	s_mov_b32 s39, 0x3feca52d
	v_add_f64 v[30:31], v[44:45], v[30:31]
	v_fma_f64 v[40:41], v[56:57], s[18:19], v[50:51]
	v_add_f64 v[22:23], v[38:39], v[22:23]
	v_add_f64 v[4:5], v[36:37], v[4:5]
	v_mul_f64 v[36:37], v[102:103], s[22:23]
	v_add_f64 v[20:21], v[34:35], v[20:21]
	v_mul_f64 v[34:35], v[92:93], s[38:39]
	v_fma_f64 v[26:27], v[116:117], s[4:5], -v[26:27]
	s_mov_b32 s40, 0x2b2883cd
	s_mov_b32 s28, 0x923c349f
	v_add_f64 v[18:19], v[18:19], v[22:23]
	s_mov_b32 s35, 0xbfe58eea
	s_mov_b32 s34, s26
	;; [unrolled: 1-line block ×4, first 2 shown]
	v_add_f64 v[70:71], v[54:55], v[66:67]
	v_add_f64 v[72:73], v[66:67], -v[54:55]
	v_add_f64 v[78:79], v[10:11], v[6:7]
	v_add_f64 v[30:31], v[40:41], v[30:31]
	v_fma_f64 v[38:39], v[60:61], s[34:35], v[36:37]
	v_mul_f64 v[40:41], v[96:97], s[24:25]
	v_fma_f64 v[42:43], v[82:83], s[40:41], v[34:35]
	v_mul_f64 v[54:55], v[86:87], s[28:29]
	v_add_f64 v[44:45], v[6:7], -v[10:11]
	v_fma_f64 v[10:11], v[104:105], s[14:15], -v[28:29]
	v_add_f64 v[26:27], v[2:3], v[26:27]
	v_add_f64 v[6:7], v[14:15], v[18:19]
	v_fma_f64 v[14:15], v[46:47], s[0:1], v[52:53]
	s_mov_b32 s36, 0xc61f0d01
	s_mov_b32 s46, 0xeb564b22
	;; [unrolled: 1-line block ×6, first 2 shown]
	v_add_f64 v[30:31], v[38:39], v[30:31]
	v_fma_f64 v[38:39], v[88:89], s[30:31], v[40:41]
	v_add_f64 v[20:21], v[42:43], v[20:21]
	v_mul_f64 v[22:23], v[90:91], s[40:41]
	v_fma_f64 v[42:43], v[78:79], s[36:37], v[54:55]
	v_add_f64 v[10:11], v[10:11], v[26:27]
	v_fma_f64 v[26:27], v[62:63], s[8:9], -v[32:33]
	v_fma_f64 v[24:25], v[58:59], s[10:11], v[24:25]
	v_add_f64 v[14:15], v[0:1], v[14:15]
	v_mul_f64 v[28:29], v[76:77], s[46:47]
	s_mov_b32 s48, 0x3259b75e
	s_mov_b32 s43, 0xbfeca52d
	;; [unrolled: 1-line block ×4, first 2 shown]
	v_add_f64 v[30:31], v[38:39], v[30:31]
	v_fma_f64 v[38:39], v[84:85], s[42:43], v[22:23]
	v_add_f64 v[4:5], v[16:17], v[4:5]
	v_add_f64 v[16:17], v[42:43], v[20:21]
	v_mul_f64 v[20:21], v[80:81], s[36:37]
	v_add_f64 v[10:11], v[26:27], v[10:11]
	v_fma_f64 v[8:9], v[98:99], s[22:23], -v[8:9]
	v_add_f64 v[14:15], v[24:25], v[14:15]
	v_fma_f64 v[24:25], v[56:57], s[6:7], v[50:51]
	v_fma_f64 v[26:27], v[70:71], s[48:49], v[28:29]
	v_mul_f64 v[32:33], v[120:121], s[6:7]
	s_mov_b32 s45, 0x3feec746
	s_mov_b32 s44, s28
	v_add_f64 v[18:19], v[38:39], v[30:31]
	v_fma_f64 v[30:31], v[44:45], s[44:45], v[20:21]
	v_add_f64 v[4:5], v[12:13], v[4:5]
	v_add_f64 v[8:9], v[8:9], v[10:11]
	v_fma_f64 v[12:13], v[94:95], s[24:25], -v[48:49]
	v_add_f64 v[14:15], v[24:25], v[14:15]
	v_fma_f64 v[24:25], v[60:61], s[26:27], v[36:37]
	v_add_f64 v[10:11], v[26:27], v[16:17]
	v_fma_f64 v[16:17], v[116:117], s[8:9], v[32:33]
	v_mul_f64 v[26:27], v[114:115], s[38:39]
	s_mov_b32 s51, 0xbfefdd0d
	s_mov_b32 s50, s46
	v_add_f64 v[18:19], v[30:31], v[18:19]
	v_add_f64 v[8:9], v[12:13], v[8:9]
	v_fma_f64 v[12:13], v[82:83], s[40:41], -v[34:35]
	v_add_f64 v[14:15], v[24:25], v[14:15]
	v_fma_f64 v[24:25], v[88:89], s[12:13], v[40:41]
	v_add_f64 v[16:17], v[2:3], v[16:17]
	v_fma_f64 v[30:31], v[104:105], s[40:41], v[26:27]
	v_mul_f64 v[34:35], v[112:113], s[50:51]
	v_mul_f64 v[38:39], v[118:119], s[8:9]
	;; [unrolled: 1-line block ×3, first 2 shown]
	v_add_f64 v[8:9], v[12:13], v[8:9]
	v_mul_f64 v[48:49], v[110:111], s[40:41]
	v_add_f64 v[12:13], v[24:25], v[14:15]
	v_fma_f64 v[14:15], v[84:85], s[38:39], v[22:23]
	v_fma_f64 v[22:23], v[78:79], s[36:37], -v[54:55]
	v_add_f64 v[16:17], v[30:31], v[16:17]
	v_fma_f64 v[24:25], v[62:63], s[48:49], v[34:35]
	v_mul_f64 v[30:31], v[106:107], s[30:31]
	v_fma_f64 v[42:43], v[46:47], s[18:19], v[38:39]
	v_fma_f64 v[40:41], v[72:73], s[50:51], v[36:37]
	;; [unrolled: 1-line block ×3, first 2 shown]
	v_add_f64 v[12:13], v[14:15], v[12:13]
	v_fma_f64 v[14:15], v[44:45], s[28:29], v[20:21]
	v_add_f64 v[20:21], v[22:23], v[8:9]
	v_add_f64 v[16:17], v[24:25], v[16:17]
	v_fma_f64 v[22:23], v[98:99], s[24:25], v[30:31]
	v_mul_f64 v[24:25], v[100:101], s[20:21]
	v_add_f64 v[42:43], v[0:1], v[42:43]
	v_mul_f64 v[52:53], v[108:109], s[48:49]
	v_add_f64 v[8:9], v[40:41], v[18:19]
	v_add_f64 v[12:13], v[14:15], v[12:13]
	v_fma_f64 v[14:15], v[70:71], s[48:49], -v[28:29]
	v_fma_f64 v[28:29], v[72:73], s[46:47], v[36:37]
	v_add_f64 v[16:17], v[22:23], v[16:17]
	v_fma_f64 v[18:19], v[94:95], s[14:15], v[24:25]
	v_add_f64 v[22:23], v[50:51], v[42:43]
	v_fma_f64 v[36:37], v[56:57], s[46:47], v[52:53]
	v_mul_f64 v[40:41], v[102:103], s[24:25]
	v_fma_f64 v[26:27], v[104:105], s[40:41], -v[26:27]
	v_add_f64 v[14:15], v[14:15], v[20:21]
	v_add_f64 v[12:13], v[28:29], v[12:13]
	v_fma_f64 v[20:21], v[116:117], s[8:9], -v[32:33]
	v_mul_f64 v[28:29], v[92:93], s[0:1]
	v_add_f64 v[16:17], v[18:19], v[16:17]
	v_fma_f64 v[18:19], v[46:47], s[6:7], v[38:39]
	v_add_f64 v[22:23], v[36:37], v[22:23]
	v_fma_f64 v[32:33], v[60:61], s[12:13], v[40:41]
	v_mul_f64 v[36:37], v[96:97], s[14:15]
	v_fma_f64 v[42:43], v[58:59], s[38:39], v[48:49]
	v_add_f64 v[20:21], v[2:3], v[20:21]
	v_fma_f64 v[38:39], v[82:83], s[4:5], v[28:29]
	v_mul_f64 v[48:49], v[86:87], s[26:27]
	v_add_f64 v[18:19], v[0:1], v[18:19]
	v_mul_f64 v[50:51], v[90:91], s[4:5]
	v_add_f64 v[22:23], v[32:33], v[22:23]
	v_fma_f64 v[32:33], v[88:89], s[10:11], v[36:37]
	v_fma_f64 v[24:25], v[94:95], s[14:15], -v[24:25]
	v_add_f64 v[20:21], v[26:27], v[20:21]
	v_fma_f64 v[26:27], v[62:63], s[48:49], -v[34:35]
	v_add_f64 v[16:17], v[38:39], v[16:17]
	v_add_f64 v[18:19], v[42:43], v[18:19]
	v_fma_f64 v[34:35], v[56:57], s[50:51], v[52:53]
	v_fma_f64 v[38:39], v[78:79], s[22:23], v[48:49]
	v_add_f64 v[22:23], v[32:33], v[22:23]
	v_mul_f64 v[32:33], v[120:121], s[12:13]
	v_fma_f64 v[42:43], v[84:85], s[16:17], v[50:51]
	v_add_f64 v[20:21], v[26:27], v[20:21]
	v_fma_f64 v[26:27], v[98:99], s[24:25], -v[30:31]
	v_mul_f64 v[30:31], v[80:81], s[22:23]
	v_add_f64 v[18:19], v[34:35], v[18:19]
	v_fma_f64 v[34:35], v[60:61], s[30:31], v[40:41]
	v_add_f64 v[16:17], v[38:39], v[16:17]
	v_fma_f64 v[38:39], v[116:117], s[24:25], v[32:33]
	v_mul_f64 v[40:41], v[114:115], s[44:45]
	v_mul_f64 v[52:53], v[118:119], s[24:25]
	v_add_f64 v[22:23], v[42:43], v[22:23]
	v_add_f64 v[20:21], v[26:27], v[20:21]
	v_fma_f64 v[26:27], v[44:45], s[34:35], v[30:31]
	v_add_f64 v[18:19], v[34:35], v[18:19]
	v_fma_f64 v[34:35], v[88:89], s[20:21], v[36:37]
	;; [unrolled: 2-line block ×3, first 2 shown]
	v_mul_f64 v[42:43], v[112:113], s[20:21]
	v_mul_f64 v[54:55], v[76:77], s[28:29]
	v_add_f64 v[20:21], v[24:25], v[20:21]
	v_mul_f64 v[24:25], v[74:75], s[36:37]
	v_fma_f64 v[28:29], v[82:83], s[4:5], -v[28:29]
	v_add_f64 v[18:19], v[34:35], v[18:19]
	v_fma_f64 v[34:35], v[84:85], s[0:1], v[50:51]
	v_add_f64 v[36:37], v[38:39], v[36:37]
	v_fma_f64 v[38:39], v[46:47], s[30:31], v[52:53]
	v_mul_f64 v[50:51], v[110:111], s[36:37]
	v_fma_f64 v[64:65], v[62:63], s[14:15], v[42:43]
	v_mul_f64 v[66:67], v[106:107], s[6:7]
	v_add_f64 v[22:23], v[26:27], v[22:23]
	v_fma_f64 v[26:27], v[70:71], s[36:37], v[54:55]
	v_mul_f64 v[124:125], v[108:109], s[14:15]
	v_add_f64 v[20:21], v[28:29], v[20:21]
	v_add_f64 v[38:39], v[0:1], v[38:39]
	v_fma_f64 v[122:123], v[58:59], s[28:29], v[50:51]
	v_fma_f64 v[28:29], v[72:73], s[44:45], v[24:25]
	v_add_f64 v[34:35], v[34:35], v[18:19]
	v_add_f64 v[36:37], v[64:65], v[36:37]
	v_fma_f64 v[64:65], v[98:99], s[8:9], v[66:67]
	v_mul_f64 v[126:127], v[100:101], s[46:47]
	v_add_f64 v[18:19], v[26:27], v[16:17]
	v_fma_f64 v[26:27], v[78:79], s[22:23], -v[48:49]
	v_add_f64 v[38:39], v[122:123], v[38:39]
	v_fma_f64 v[48:49], v[56:57], s[10:11], v[124:125]
	v_mul_f64 v[122:123], v[102:103], s[8:9]
	v_fma_f64 v[30:31], v[44:45], s[26:27], v[30:31]
	v_add_f64 v[16:17], v[28:29], v[22:23]
	v_add_f64 v[22:23], v[64:65], v[36:37]
	v_fma_f64 v[28:29], v[94:95], s[48:49], v[126:127]
	v_add_f64 v[20:21], v[26:27], v[20:21]
	v_mul_f64 v[36:37], v[92:93], s[34:35]
	v_add_f64 v[26:27], v[48:49], v[38:39]
	v_fma_f64 v[38:39], v[60:61], s[18:19], v[122:123]
	v_mul_f64 v[48:49], v[96:97], s[48:49]
	v_add_f64 v[30:31], v[30:31], v[34:35]
	v_fma_f64 v[34:35], v[70:71], s[36:37], -v[54:55]
	v_fma_f64 v[24:25], v[72:73], s[28:29], v[24:25]
	v_add_f64 v[28:29], v[28:29], v[22:23]
	v_fma_f64 v[22:23], v[116:117], s[24:25], -v[32:33]
	v_mul_f64 v[54:55], v[90:91], s[22:23]
	v_add_f64 v[26:27], v[38:39], v[26:27]
	v_fma_f64 v[38:39], v[88:89], s[50:51], v[48:49]
	v_fma_f64 v[52:53], v[46:47], s[12:13], v[52:53]
	;; [unrolled: 1-line block ×3, first 2 shown]
	v_mul_f64 v[64:65], v[86:87], s[0:1]
	v_fma_f64 v[40:41], v[104:105], s[36:37], -v[40:41]
	v_add_f64 v[128:129], v[2:3], v[22:23]
	v_add_f64 v[22:23], v[34:35], v[20:21]
	;; [unrolled: 1-line block ×4, first 2 shown]
	v_fma_f64 v[26:27], v[84:85], s[26:27], v[54:55]
	v_fma_f64 v[30:31], v[58:59], s[44:45], v[50:51]
	v_add_f64 v[34:35], v[0:1], v[52:53]
	v_mul_f64 v[38:39], v[80:81], s[4:5]
	v_add_f64 v[40:41], v[40:41], v[128:129]
	v_fma_f64 v[42:43], v[62:63], s[14:15], -v[42:43]
	v_add_f64 v[28:29], v[32:33], v[28:29]
	v_fma_f64 v[32:33], v[78:79], s[4:5], v[64:65]
	v_mul_f64 v[50:51], v[76:77], s[38:39]
	v_add_f64 v[24:25], v[26:27], v[24:25]
	v_add_f64 v[26:27], v[30:31], v[34:35]
	v_fma_f64 v[30:31], v[56:57], s[20:21], v[124:125]
	v_fma_f64 v[34:35], v[44:45], s[16:17], v[38:39]
	v_add_f64 v[40:41], v[42:43], v[40:41]
	v_fma_f64 v[42:43], v[98:99], s[8:9], -v[66:67]
	v_add_f64 v[28:29], v[32:33], v[28:29]
	v_fma_f64 v[32:33], v[70:71], s[40:41], v[50:51]
	v_mul_f64 v[52:53], v[120:121], s[28:29]
	v_mul_f64 v[66:67], v[74:75], s[40:41]
	v_add_f64 v[30:31], v[30:31], v[26:27]
	v_fma_f64 v[122:123], v[60:61], s[6:7], v[122:123]
	v_add_f64 v[24:25], v[34:35], v[24:25]
	v_add_f64 v[34:35], v[42:43], v[40:41]
	v_fma_f64 v[40:41], v[94:95], s[48:49], -v[126:127]
	v_add_f64 v[26:27], v[32:33], v[28:29]
	v_fma_f64 v[28:29], v[116:117], s[36:37], v[52:53]
	v_mul_f64 v[32:33], v[114:115], s[18:19]
	v_fma_f64 v[42:43], v[72:73], s[42:43], v[66:67]
	v_add_f64 v[30:31], v[122:123], v[30:31]
	v_mul_f64 v[122:123], v[118:119], s[36:37]
	v_fma_f64 v[48:49], v[88:89], s[46:47], v[48:49]
	v_add_f64 v[34:35], v[40:41], v[34:35]
	v_fma_f64 v[36:37], v[82:83], s[22:23], -v[36:37]
	v_add_f64 v[28:29], v[2:3], v[28:29]
	v_fma_f64 v[40:41], v[104:105], s[8:9], v[32:33]
	v_mul_f64 v[124:125], v[112:113], s[26:27]
	v_add_f64 v[24:25], v[42:43], v[24:25]
	v_fma_f64 v[42:43], v[46:47], s[44:45], v[122:123]
	v_mul_f64 v[126:127], v[110:111], s[8:9]
	v_add_f64 v[30:31], v[48:49], v[30:31]
	v_fma_f64 v[48:49], v[84:85], s[34:35], v[54:55]
	v_add_f64 v[34:35], v[36:37], v[34:35]
	v_add_f64 v[28:29], v[40:41], v[28:29]
	v_fma_f64 v[36:37], v[62:63], s[22:23], v[124:125]
	v_mul_f64 v[40:41], v[106:107], s[42:43]
	v_add_f64 v[42:43], v[0:1], v[42:43]
	v_fma_f64 v[54:55], v[58:59], s[6:7], v[126:127]
	v_mul_f64 v[128:129], v[108:109], s[22:23]
	v_fma_f64 v[64:65], v[78:79], s[4:5], -v[64:65]
	v_add_f64 v[30:31], v[48:49], v[30:31]
	v_fma_f64 v[38:39], v[44:45], s[0:1], v[38:39]
	v_add_f64 v[28:29], v[36:37], v[28:29]
	v_fma_f64 v[36:37], v[98:99], s[40:41], v[40:41]
	v_mul_f64 v[48:49], v[100:101], s[0:1]
	v_add_f64 v[42:43], v[54:55], v[42:43]
	v_fma_f64 v[54:55], v[56:57], s[34:35], v[128:129]
	v_mul_f64 v[130:131], v[102:103], s[40:41]
	v_add_f64 v[34:35], v[64:65], v[34:35]
	v_fma_f64 v[50:51], v[70:71], s[40:41], -v[50:51]
	v_add_f64 v[38:39], v[38:39], v[30:31]
	v_fma_f64 v[64:65], v[72:73], s[38:39], v[66:67]
	v_add_f64 v[36:37], v[36:37], v[28:29]
	v_fma_f64 v[66:67], v[94:95], s[4:5], v[48:49]
	;; [unrolled: 2-line block ×3, first 2 shown]
	v_mul_f64 v[132:133], v[96:97], s[4:5]
	v_add_f64 v[30:31], v[50:51], v[34:35]
	v_mul_f64 v[50:51], v[92:93], s[46:47]
	v_add_f64 v[28:29], v[64:65], v[38:39]
	v_fma_f64 v[34:35], v[116:117], s[36:37], -v[52:53]
	v_fma_f64 v[38:39], v[46:47], s[28:29], v[122:123]
	v_add_f64 v[36:37], v[66:67], v[36:37]
	v_add_f64 v[42:43], v[54:55], v[42:43]
	v_fma_f64 v[52:53], v[88:89], s[16:17], v[132:133]
	v_mul_f64 v[54:55], v[90:91], s[48:49]
	v_fma_f64 v[64:65], v[82:83], s[48:49], v[50:51]
	v_fma_f64 v[32:33], v[104:105], s[8:9], -v[32:33]
	v_add_f64 v[34:35], v[2:3], v[34:35]
	v_fma_f64 v[66:67], v[58:59], s[18:19], v[126:127]
	v_add_f64 v[38:39], v[0:1], v[38:39]
	v_mul_f64 v[122:123], v[86:87], s[20:21]
	v_add_f64 v[42:43], v[52:53], v[42:43]
	v_fma_f64 v[52:53], v[84:85], s[50:51], v[54:55]
	v_add_f64 v[36:37], v[64:65], v[36:37]
	v_mul_f64 v[64:65], v[80:81], s[14:15]
	v_add_f64 v[32:33], v[32:33], v[34:35]
	v_fma_f64 v[34:35], v[62:63], s[22:23], -v[124:125]
	v_add_f64 v[38:39], v[66:67], v[38:39]
	v_fma_f64 v[66:67], v[56:57], s[26:27], v[128:129]
	v_fma_f64 v[124:125], v[78:79], s[14:15], v[122:123]
	v_add_f64 v[42:43], v[52:53], v[42:43]
	v_mul_f64 v[52:53], v[76:77], s[12:13]
	v_fma_f64 v[126:127], v[44:45], s[10:11], v[64:65]
	v_mul_f64 v[128:129], v[120:121], s[50:51]
	v_add_f64 v[32:33], v[34:35], v[32:33]
	v_fma_f64 v[34:35], v[98:99], s[40:41], -v[40:41]
	v_add_f64 v[38:39], v[66:67], v[38:39]
	v_fma_f64 v[40:41], v[60:61], s[42:43], v[130:131]
	v_add_f64 v[36:37], v[124:125], v[36:37]
	v_fma_f64 v[66:67], v[70:71], s[24:25], v[52:53]
	;; [unrolled: 2-line block ×3, first 2 shown]
	v_mul_f64 v[126:127], v[114:115], s[0:1]
	v_add_f64 v[32:33], v[34:35], v[32:33]
	v_fma_f64 v[48:49], v[94:95], s[4:5], -v[48:49]
	v_add_f64 v[38:39], v[40:41], v[38:39]
	v_fma_f64 v[40:41], v[88:89], s[0:1], v[132:133]
	v_add_f64 v[34:35], v[66:67], v[36:37]
	v_mul_f64 v[36:37], v[74:75], s[24:25]
	v_add_f64 v[66:67], v[2:3], v[124:125]
	v_fma_f64 v[124:125], v[104:105], s[4:5], v[126:127]
	v_mul_f64 v[130:131], v[112:113], s[44:45]
	v_add_f64 v[32:33], v[48:49], v[32:33]
	v_fma_f64 v[48:49], v[82:83], s[48:49], -v[50:51]
	v_add_f64 v[38:39], v[40:41], v[38:39]
	v_fma_f64 v[40:41], v[84:85], s[46:47], v[54:55]
	v_mul_f64 v[50:51], v[118:119], s[48:49]
	v_fma_f64 v[54:55], v[72:73], s[30:31], v[36:37]
	v_add_f64 v[66:67], v[124:125], v[66:67]
	v_fma_f64 v[124:125], v[62:63], s[36:37], v[130:131]
	v_mul_f64 v[132:133], v[106:107], s[10:11]
	v_add_f64 v[48:49], v[48:49], v[32:33]
	v_fma_f64 v[122:123], v[78:79], s[14:15], -v[122:123]
	v_add_f64 v[38:39], v[40:41], v[38:39]
	v_fma_f64 v[40:41], v[46:47], s[46:47], v[50:51]
	v_mul_f64 v[134:135], v[110:111], s[4:5]
	v_fma_f64 v[64:65], v[44:45], s[20:21], v[64:65]
	v_add_f64 v[66:67], v[124:125], v[66:67]
	v_fma_f64 v[124:125], v[98:99], s[14:15], v[132:133]
	v_mul_f64 v[136:137], v[100:101], s[42:43]
	v_add_f64 v[32:33], v[54:55], v[42:43]
	v_add_f64 v[42:43], v[122:123], v[48:49]
	;; [unrolled: 1-line block ×3, first 2 shown]
	v_fma_f64 v[48:49], v[58:59], s[16:17], v[134:135]
	v_add_f64 v[54:55], v[64:65], v[38:39]
	v_mul_f64 v[38:39], v[108:109], s[36:37]
	v_add_f64 v[64:65], v[124:125], v[66:67]
	v_fma_f64 v[66:67], v[94:95], s[40:41], v[136:137]
	v_fma_f64 v[122:123], v[116:117], s[48:49], -v[128:129]
	v_mul_f64 v[124:125], v[102:103], s[14:15]
	v_fma_f64 v[126:127], v[104:105], s[4:5], -v[126:127]
	v_add_f64 v[40:41], v[48:49], v[40:41]
	v_fma_f64 v[48:49], v[46:47], s[50:51], v[50:51]
	v_fma_f64 v[50:51], v[56:57], s[28:29], v[38:39]
	;; [unrolled: 1-line block ×3, first 2 shown]
	v_add_f64 v[64:65], v[66:67], v[64:65]
	v_mul_f64 v[66:67], v[92:93], s[6:7]
	v_add_f64 v[122:123], v[2:3], v[122:123]
	v_mul_f64 v[134:135], v[96:97], s[40:41]
	v_mul_f64 v[140:141], v[86:87], s[30:31]
	v_add_f64 v[48:49], v[0:1], v[48:49]
	v_add_f64 v[40:41], v[50:51], v[40:41]
	v_fma_f64 v[50:51], v[60:61], s[20:21], v[124:125]
	v_fma_f64 v[38:39], v[56:57], s[44:45], v[38:39]
	;; [unrolled: 1-line block ×3, first 2 shown]
	v_add_f64 v[122:123], v[126:127], v[122:123]
	v_fma_f64 v[126:127], v[62:63], s[36:37], -v[130:131]
	v_fma_f64 v[52:53], v[70:71], s[24:25], -v[52:53]
	v_add_f64 v[48:49], v[128:129], v[48:49]
	v_mul_f64 v[128:129], v[90:91], s[8:9]
	v_add_f64 v[40:41], v[50:51], v[40:41]
	v_fma_f64 v[50:51], v[88:89], s[38:39], v[134:135]
	v_add_f64 v[64:65], v[138:139], v[64:65]
	v_fma_f64 v[130:131], v[78:79], s[24:25], v[140:141]
	v_add_f64 v[122:123], v[126:127], v[122:123]
	v_fma_f64 v[126:127], v[98:99], s[14:15], -v[132:133]
	v_add_f64 v[48:49], v[38:39], v[48:49]
	v_fma_f64 v[124:125], v[60:61], s[10:11], v[124:125]
	v_add_f64 v[38:39], v[52:53], v[42:43]
	v_add_f64 v[40:41], v[50:51], v[40:41]
	v_fma_f64 v[50:51], v[84:85], s[18:19], v[128:129]
	v_mul_f64 v[42:43], v[80:81], s[24:25]
	v_add_f64 v[52:53], v[130:131], v[64:65]
	v_add_f64 v[64:65], v[126:127], v[122:123]
	v_fma_f64 v[122:123], v[94:95], s[40:41], -v[136:137]
	v_add_f64 v[48:49], v[124:125], v[48:49]
	v_fma_f64 v[124:125], v[88:89], s[42:43], v[134:135]
	v_mul_f64 v[130:131], v[76:77], s[26:27]
	v_add_f64 v[40:41], v[50:51], v[40:41]
	v_mul_f64 v[50:51], v[120:121], s[42:43]
	v_fma_f64 v[126:127], v[44:45], s[12:13], v[42:43]
	v_fma_f64 v[66:67], v[82:83], s[8:9], -v[66:67]
	v_add_f64 v[64:65], v[122:123], v[64:65]
	v_fma_f64 v[122:123], v[84:85], s[6:7], v[128:129]
	v_add_f64 v[48:49], v[124:125], v[48:49]
	v_mul_f64 v[128:129], v[114:115], s[12:13]
	v_fma_f64 v[36:37], v[72:73], s[12:13], v[36:37]
	v_fma_f64 v[124:125], v[116:117], s[40:41], v[50:51]
	v_add_f64 v[40:41], v[126:127], v[40:41]
	v_fma_f64 v[126:127], v[70:71], s[22:23], v[130:131]
	v_add_f64 v[64:65], v[66:67], v[64:65]
	v_fma_f64 v[66:67], v[78:79], s[24:25], -v[140:141]
	v_add_f64 v[48:49], v[122:123], v[48:49]
	v_mul_f64 v[136:137], v[112:113], s[16:17]
	v_mul_f64 v[132:133], v[74:75], s[22:23]
	v_add_f64 v[122:123], v[2:3], v[124:125]
	v_fma_f64 v[124:125], v[104:105], s[24:25], v[128:129]
	v_fma_f64 v[138:139], v[44:45], s[30:31], v[42:43]
	v_mul_f64 v[140:141], v[118:119], s[40:41]
	v_add_f64 v[36:37], v[36:37], v[54:55]
	v_add_f64 v[42:43], v[126:127], v[52:53]
	;; [unrolled: 1-line block ×3, first 2 shown]
	v_fma_f64 v[64:65], v[62:63], s[4:5], v[136:137]
	v_fma_f64 v[134:135], v[72:73], s[34:35], v[132:133]
	v_add_f64 v[54:55], v[124:125], v[122:123]
	v_mul_f64 v[122:123], v[110:111], s[24:25]
	v_fma_f64 v[66:67], v[46:47], s[38:39], v[140:141]
	v_fma_f64 v[50:51], v[116:117], s[40:41], -v[50:51]
	v_fma_f64 v[124:125], v[70:71], s[22:23], -v[130:131]
	v_fma_f64 v[130:131], v[72:73], s[26:27], v[132:133]
	v_fma_f64 v[128:129], v[104:105], s[24:25], -v[128:129]
	v_add_f64 v[40:41], v[134:135], v[40:41]
	v_add_f64 v[54:55], v[64:65], v[54:55]
	v_fma_f64 v[64:65], v[46:47], s[42:43], v[140:141]
	v_add_f64 v[66:67], v[0:1], v[66:67]
	v_fma_f64 v[132:133], v[58:59], s[30:31], v[122:123]
	v_mul_f64 v[134:135], v[108:109], s[4:5]
	v_add_f64 v[50:51], v[2:3], v[50:51]
	v_fma_f64 v[122:123], v[58:59], s[12:13], v[122:123]
	v_mul_f64 v[126:127], v[106:107], s[44:45]
	v_mul_f64 v[142:143], v[102:103], s[36:37]
	v_add_f64 v[64:65], v[0:1], v[64:65]
	v_add_f64 v[48:49], v[138:139], v[48:49]
	;; [unrolled: 1-line block ×3, first 2 shown]
	v_fma_f64 v[132:133], v[56:57], s[0:1], v[134:135]
	v_add_f64 v[50:51], v[128:129], v[50:51]
	v_fma_f64 v[128:129], v[62:63], s[4:5], -v[136:137]
	v_fma_f64 v[138:139], v[98:99], s[36:37], v[126:127]
	v_mul_f64 v[140:141], v[100:101], s[26:27]
	v_add_f64 v[64:65], v[122:123], v[64:65]
	v_fma_f64 v[122:123], v[56:57], s[16:17], v[134:135]
	v_mul_f64 v[136:137], v[96:97], s[22:23]
	v_add_f64 v[66:67], v[132:133], v[66:67]
	v_fma_f64 v[132:133], v[60:61], s[28:29], v[142:143]
	v_add_f64 v[50:51], v[128:129], v[50:51]
	v_fma_f64 v[126:127], v[98:99], s[36:37], -v[126:127]
	v_add_f64 v[54:55], v[138:139], v[54:55]
	v_fma_f64 v[134:135], v[94:95], s[22:23], v[140:141]
	v_add_f64 v[64:65], v[122:123], v[64:65]
	v_fma_f64 v[122:123], v[60:61], s[44:45], v[142:143]
	v_mul_f64 v[138:139], v[92:93], s[20:21]
	v_add_f64 v[66:67], v[132:133], v[66:67]
	v_fma_f64 v[128:129], v[88:89], s[34:35], v[136:137]
	v_mul_f64 v[132:133], v[90:91], s[14:15]
	v_add_f64 v[50:51], v[126:127], v[50:51]
	v_fma_f64 v[126:127], v[94:95], s[22:23], -v[140:141]
	v_add_f64 v[54:55], v[134:135], v[54:55]
	v_add_f64 v[64:65], v[122:123], v[64:65]
	v_fma_f64 v[122:123], v[88:89], s[26:27], v[136:137]
	v_fma_f64 v[134:135], v[82:83], s[14:15], v[138:139]
	v_mul_f64 v[136:137], v[86:87], s[50:51]
	v_add_f64 v[66:67], v[128:129], v[66:67]
	v_fma_f64 v[128:129], v[84:85], s[10:11], v[132:133]
	v_mul_f64 v[140:141], v[80:81], s[48:49]
	v_add_f64 v[50:51], v[126:127], v[50:51]
	v_fma_f64 v[126:127], v[82:83], s[14:15], -v[138:139]
	v_add_f64 v[64:65], v[122:123], v[64:65]
	v_fma_f64 v[122:123], v[84:85], s[20:21], v[132:133]
	v_add_f64 v[54:55], v[134:135], v[54:55]
	v_fma_f64 v[132:133], v[78:79], s[48:49], v[136:137]
	;; [unrolled: 2-line block ×3, first 2 shown]
	v_mul_f64 v[134:135], v[76:77], s[6:7]
	v_mul_f64 v[138:139], v[74:75], s[8:9]
	v_add_f64 v[126:127], v[126:127], v[50:51]
	v_fma_f64 v[136:137], v[78:79], s[48:49], -v[136:137]
	v_add_f64 v[64:65], v[122:123], v[64:65]
	v_fma_f64 v[122:123], v[44:45], s[50:51], v[140:141]
	v_add_f64 v[50:51], v[124:125], v[52:53]
	v_add_f64 v[52:53], v[132:133], v[54:55]
	;; [unrolled: 1-line block ×3, first 2 shown]
	v_fma_f64 v[54:55], v[70:71], s[8:9], v[134:135]
	v_mul_f64 v[124:125], v[120:121], s[34:35]
	v_fma_f64 v[128:129], v[72:73], s[18:19], v[138:139]
	v_add_f64 v[126:127], v[136:137], v[126:127]
	v_add_f64 v[64:65], v[122:123], v[64:65]
	v_fma_f64 v[122:123], v[70:71], s[8:9], -v[134:135]
	v_fma_f64 v[132:133], v[72:73], s[6:7], v[138:139]
	v_add_f64 v[48:49], v[130:131], v[48:49]
	v_add_f64 v[54:55], v[54:55], v[52:53]
	v_fma_f64 v[130:131], v[116:117], s[22:23], v[124:125]
	v_mul_f64 v[134:135], v[114:115], s[50:51]
	v_add_f64 v[52:53], v[128:129], v[66:67]
	v_mul_f64 v[120:121], v[120:121], s[20:21]
	v_add_f64 v[66:67], v[122:123], v[126:127]
	;; [unrolled: 2-line block ×3, first 2 shown]
	v_fma_f64 v[124:125], v[116:117], s[22:23], -v[124:125]
	v_add_f64 v[126:127], v[2:3], v[130:131]
	v_fma_f64 v[128:129], v[104:105], s[48:49], v[134:135]
	v_mul_f64 v[130:131], v[112:113], s[12:13]
	v_fma_f64 v[132:133], v[116:117], s[14:15], v[120:121]
	v_mul_f64 v[118:119], v[118:119], s[14:15]
	v_fma_f64 v[116:117], v[116:117], s[14:15], -v[120:121]
	v_fma_f64 v[120:121], v[46:47], s[26:27], v[122:123]
	v_mul_f64 v[136:137], v[110:111], s[48:49]
	v_fma_f64 v[122:123], v[46:47], s[34:35], v[122:123]
	v_add_f64 v[126:127], v[128:129], v[126:127]
	v_fma_f64 v[128:129], v[62:63], s[24:25], v[130:131]
	v_mul_f64 v[138:139], v[106:107], s[0:1]
	v_fma_f64 v[140:141], v[46:47], s[10:11], v[118:119]
	v_fma_f64 v[46:47], v[46:47], s[20:21], v[118:119]
	v_add_f64 v[118:119], v[0:1], v[120:121]
	v_add_f64 v[120:121], v[2:3], v[124:125]
	v_fma_f64 v[124:125], v[58:59], s[46:47], v[136:137]
	v_mul_f64 v[142:143], v[108:109], s[24:25]
	v_add_f64 v[132:133], v[2:3], v[132:133]
	v_add_f64 v[2:3], v[2:3], v[116:117]
	v_fma_f64 v[116:117], v[104:105], s[48:49], -v[134:135]
	v_add_f64 v[126:127], v[128:129], v[126:127]
	v_fma_f64 v[128:129], v[98:99], s[4:5], v[138:139]
	v_mul_f64 v[144:145], v[100:101], s[18:19]
	v_add_f64 v[118:119], v[124:125], v[118:119]
	v_fma_f64 v[124:125], v[56:57], s[30:31], v[142:143]
	v_mul_f64 v[146:147], v[102:103], s[4:5]
	v_add_f64 v[122:123], v[0:1], v[122:123]
	v_add_f64 v[116:117], v[116:117], v[120:121]
	v_fma_f64 v[120:121], v[62:63], s[24:25], -v[130:131]
	v_add_f64 v[140:141], v[0:1], v[140:141]
	v_add_f64 v[126:127], v[128:129], v[126:127]
	v_fma_f64 v[128:129], v[94:95], s[8:9], v[144:145]
	v_mul_f64 v[148:149], v[92:93], s[44:45]
	v_add_f64 v[0:1], v[0:1], v[46:47]
	v_add_f64 v[46:47], v[124:125], v[118:119]
	v_fma_f64 v[118:119], v[60:61], s[16:17], v[146:147]
	v_mul_f64 v[124:125], v[96:97], s[8:9]
	v_add_f64 v[116:117], v[120:121], v[116:117]
	v_fma_f64 v[120:121], v[98:99], s[4:5], -v[138:139]
	v_add_f64 v[126:127], v[128:129], v[126:127]
	v_fma_f64 v[128:129], v[82:83], s[36:37], v[148:149]
	v_fma_f64 v[134:135], v[58:59], s[50:51], v[136:137]
	v_mul_f64 v[130:131], v[86:87], s[38:39]
	v_add_f64 v[46:47], v[118:119], v[46:47]
	v_fma_f64 v[118:119], v[88:89], s[6:7], v[124:125]
	v_mul_f64 v[136:137], v[90:91], s[36:37]
	v_add_f64 v[116:117], v[120:121], v[116:117]
	v_fma_f64 v[120:121], v[94:95], s[8:9], -v[144:145]
	v_add_f64 v[126:127], v[128:129], v[126:127]
	v_add_f64 v[122:123], v[134:135], v[122:123]
	v_fma_f64 v[128:129], v[56:57], s[12:13], v[142:143]
	v_fma_f64 v[134:135], v[78:79], s[40:41], v[130:131]
	v_add_f64 v[46:47], v[118:119], v[46:47]
	v_fma_f64 v[118:119], v[84:85], s[28:29], v[136:137]
	v_mul_f64 v[138:139], v[80:81], s[40:41]
	v_mul_f64 v[114:115], v[114:115], s[34:35]
	v_add_f64 v[116:117], v[120:121], v[116:117]
	v_fma_f64 v[120:121], v[82:83], s[36:37], -v[148:149]
	v_mul_f64 v[110:111], v[110:111], s[22:23]
	v_add_f64 v[122:123], v[128:129], v[122:123]
	v_fma_f64 v[128:129], v[60:61], s[0:1], v[146:147]
	v_add_f64 v[126:127], v[134:135], v[126:127]
	v_add_f64 v[46:47], v[118:119], v[46:47]
	v_fma_f64 v[118:119], v[44:45], s[42:43], v[138:139]
	v_fma_f64 v[134:135], v[104:105], s[22:23], v[114:115]
	v_mul_f64 v[112:113], v[112:113], s[42:43]
	v_add_f64 v[116:117], v[120:121], v[116:117]
	v_fma_f64 v[120:121], v[58:59], s[26:27], v[110:111]
	v_mul_f64 v[108:109], v[108:109], s[40:41]
	v_fma_f64 v[104:105], v[104:105], s[22:23], -v[114:115]
	v_fma_f64 v[58:59], v[58:59], s[34:35], v[110:111]
	v_add_f64 v[122:123], v[128:129], v[122:123]
	v_add_f64 v[46:47], v[118:119], v[46:47]
	;; [unrolled: 1-line block ×3, first 2 shown]
	v_fma_f64 v[128:129], v[62:63], s[40:41], v[112:113]
	v_mul_f64 v[106:107], v[106:107], s[50:51]
	v_add_f64 v[114:115], v[120:121], v[140:141]
	v_fma_f64 v[120:121], v[56:57], s[38:39], v[108:109]
	v_mul_f64 v[102:103], v[102:103], s[48:49]
	v_fma_f64 v[62:63], v[62:63], s[40:41], -v[112:113]
	v_add_f64 v[2:3], v[104:105], v[2:3]
	v_fma_f64 v[56:57], v[56:57], s[42:43], v[108:109]
	v_add_f64 v[0:1], v[58:59], v[0:1]
	v_add_f64 v[118:119], v[128:129], v[118:119]
	v_fma_f64 v[128:129], v[98:99], s[48:49], v[106:107]
	v_mul_f64 v[100:101], v[100:101], s[28:29]
	v_add_f64 v[104:105], v[120:121], v[114:115]
	v_fma_f64 v[112:113], v[60:61], s[46:47], v[102:103]
	v_fma_f64 v[98:99], v[98:99], s[48:49], -v[106:107]
	v_add_f64 v[2:3], v[62:63], v[2:3]
	v_mul_f64 v[58:59], v[96:97], s[36:37]
	v_fma_f64 v[60:61], v[60:61], s[50:51], v[102:103]
	v_add_f64 v[0:1], v[56:57], v[0:1]
	v_fma_f64 v[124:125], v[88:89], s[18:19], v[124:125]
	v_add_f64 v[118:119], v[128:129], v[118:119]
	v_fma_f64 v[128:129], v[94:95], s[36:37], v[100:101]
	v_add_f64 v[104:105], v[112:113], v[104:105]
	v_mul_f64 v[92:93], v[92:93], s[12:13]
	v_fma_f64 v[94:95], v[94:95], s[36:37], -v[100:101]
	v_fma_f64 v[56:57], v[88:89], s[44:45], v[58:59]
	v_mul_f64 v[90:91], v[90:91], s[24:25]
	v_add_f64 v[2:3], v[98:99], v[2:3]
	v_fma_f64 v[58:59], v[88:89], s[28:29], v[58:59]
	v_add_f64 v[0:1], v[60:61], v[0:1]
	v_add_f64 v[122:123], v[124:125], v[122:123]
	v_fma_f64 v[124:125], v[84:85], s[44:45], v[136:137]
	v_fma_f64 v[102:103], v[82:83], s[24:25], v[92:93]
	v_mul_f64 v[86:87], v[86:87], s[6:7]
	v_add_f64 v[56:57], v[56:57], v[104:105]
	v_fma_f64 v[60:61], v[84:85], s[30:31], v[90:91]
	v_fma_f64 v[82:83], v[82:83], s[24:25], -v[92:93]
	v_add_f64 v[2:3], v[94:95], v[2:3]
	v_fma_f64 v[84:85], v[84:85], s[12:13], v[90:91]
	v_mul_f64 v[80:81], v[80:81], s[8:9]
	v_add_f64 v[0:1], v[58:59], v[0:1]
	v_add_f64 v[110:111], v[128:129], v[118:119]
	v_fma_f64 v[130:131], v[78:79], s[40:41], -v[130:131]
	v_add_f64 v[122:123], v[124:125], v[122:123]
	v_fma_f64 v[124:125], v[44:45], s[38:39], v[138:139]
	v_mul_f64 v[118:119], v[76:77], s[10:11]
	v_mul_f64 v[62:63], v[74:75], s[14:15]
	v_fma_f64 v[58:59], v[78:79], s[8:9], v[86:87]
	v_add_f64 v[56:57], v[60:61], v[56:57]
	v_mul_f64 v[60:61], v[76:77], s[0:1]
	v_fma_f64 v[76:77], v[78:79], s[8:9], -v[86:87]
	v_add_f64 v[2:3], v[82:83], v[2:3]
	v_mul_f64 v[74:75], v[74:75], s[4:5]
	v_fma_f64 v[78:79], v[44:45], s[6:7], v[80:81]
	v_add_f64 v[0:1], v[84:85], v[0:1]
	v_add_f64 v[88:89], v[102:103], v[110:111]
	v_fma_f64 v[44:45], v[44:45], s[18:19], v[80:81]
	v_add_f64 v[114:115], v[124:125], v[122:123]
	v_fma_f64 v[96:97], v[70:71], s[14:15], v[118:119]
	v_fma_f64 v[100:101], v[72:73], s[20:21], v[62:63]
	v_fma_f64 v[106:107], v[70:71], s[14:15], -v[118:119]
	v_fma_f64 v[62:63], v[72:73], s[10:11], v[62:63]
	v_fma_f64 v[80:81], v[70:71], s[4:5], v[60:61]
	v_fma_f64 v[60:61], v[70:71], s[4:5], -v[60:61]
	v_add_f64 v[70:71], v[76:77], v[2:3]
	v_fma_f64 v[76:77], v[72:73], s[16:17], v[74:75]
	v_fma_f64 v[72:73], v[72:73], s[0:1], v[74:75]
	v_add_f64 v[74:75], v[78:79], v[0:1]
	v_add_f64 v[116:117], v[130:131], v[116:117]
	;; [unrolled: 1-line block ×7, first 2 shown]
	v_mov_b32_e32 v70, s3
	v_add_f64 v[60:61], v[72:73], v[74:75]
	v_add_f64 v[46:47], v[106:107], v[116:117]
	v_add_co_u32_e32 v68, vcc, s2, v68
	v_addc_co_u32_e32 v69, vcc, v70, v69, vcc
	v_add_f64 v[2:3], v[96:97], v[126:127]
	v_add_f64 v[58:59], v[80:81], v[58:59]
	;; [unrolled: 1-line block ×3, first 2 shown]
	global_store_dwordx4 v[68:69], v[4:7], off
	global_store_dwordx4 v[68:69], v[60:63], off offset:16
	global_store_dwordx4 v[68:69], v[44:47], off offset:32
	;; [unrolled: 1-line block ×16, first 2 shown]
	s_endpgm
	.section	.rodata,"a",@progbits
	.p2align	6, 0x0
	.amdhsa_kernel fft_rtc_back_len17_factors_17_wgs_120_tpt_1_dp_ip_CI_unitstride_sbrr_dirReg
		.amdhsa_group_segment_fixed_size 0
		.amdhsa_private_segment_fixed_size 0
		.amdhsa_kernarg_size 88
		.amdhsa_user_sgpr_count 6
		.amdhsa_user_sgpr_private_segment_buffer 1
		.amdhsa_user_sgpr_dispatch_ptr 0
		.amdhsa_user_sgpr_queue_ptr 0
		.amdhsa_user_sgpr_kernarg_segment_ptr 1
		.amdhsa_user_sgpr_dispatch_id 0
		.amdhsa_user_sgpr_flat_scratch_init 0
		.amdhsa_user_sgpr_private_segment_size 0
		.amdhsa_uses_dynamic_stack 0
		.amdhsa_system_sgpr_private_segment_wavefront_offset 0
		.amdhsa_system_sgpr_workgroup_id_x 1
		.amdhsa_system_sgpr_workgroup_id_y 0
		.amdhsa_system_sgpr_workgroup_id_z 0
		.amdhsa_system_sgpr_workgroup_info 0
		.amdhsa_system_vgpr_workitem_id 0
		.amdhsa_next_free_vgpr 150
		.amdhsa_next_free_sgpr 52
		.amdhsa_reserve_vcc 1
		.amdhsa_reserve_flat_scratch 0
		.amdhsa_float_round_mode_32 0
		.amdhsa_float_round_mode_16_64 0
		.amdhsa_float_denorm_mode_32 3
		.amdhsa_float_denorm_mode_16_64 3
		.amdhsa_dx10_clamp 1
		.amdhsa_ieee_mode 1
		.amdhsa_fp16_overflow 0
		.amdhsa_exception_fp_ieee_invalid_op 0
		.amdhsa_exception_fp_denorm_src 0
		.amdhsa_exception_fp_ieee_div_zero 0
		.amdhsa_exception_fp_ieee_overflow 0
		.amdhsa_exception_fp_ieee_underflow 0
		.amdhsa_exception_fp_ieee_inexact 0
		.amdhsa_exception_int_div_zero 0
	.end_amdhsa_kernel
	.text
.Lfunc_end0:
	.size	fft_rtc_back_len17_factors_17_wgs_120_tpt_1_dp_ip_CI_unitstride_sbrr_dirReg, .Lfunc_end0-fft_rtc_back_len17_factors_17_wgs_120_tpt_1_dp_ip_CI_unitstride_sbrr_dirReg
                                        ; -- End function
	.section	.AMDGPU.csdata,"",@progbits
; Kernel info:
; codeLenInByte = 7424
; NumSgprs: 56
; NumVgprs: 150
; ScratchSize: 0
; MemoryBound: 1
; FloatMode: 240
; IeeeMode: 1
; LDSByteSize: 0 bytes/workgroup (compile time only)
; SGPRBlocks: 6
; VGPRBlocks: 37
; NumSGPRsForWavesPerEU: 56
; NumVGPRsForWavesPerEU: 150
; Occupancy: 1
; WaveLimiterHint : 1
; COMPUTE_PGM_RSRC2:SCRATCH_EN: 0
; COMPUTE_PGM_RSRC2:USER_SGPR: 6
; COMPUTE_PGM_RSRC2:TRAP_HANDLER: 0
; COMPUTE_PGM_RSRC2:TGID_X_EN: 1
; COMPUTE_PGM_RSRC2:TGID_Y_EN: 0
; COMPUTE_PGM_RSRC2:TGID_Z_EN: 0
; COMPUTE_PGM_RSRC2:TIDIG_COMP_CNT: 0
	.type	__hip_cuid_e670bbf644352a64,@object ; @__hip_cuid_e670bbf644352a64
	.section	.bss,"aw",@nobits
	.globl	__hip_cuid_e670bbf644352a64
__hip_cuid_e670bbf644352a64:
	.byte	0                               ; 0x0
	.size	__hip_cuid_e670bbf644352a64, 1

	.ident	"AMD clang version 19.0.0git (https://github.com/RadeonOpenCompute/llvm-project roc-6.4.0 25133 c7fe45cf4b819c5991fe208aaa96edf142730f1d)"
	.section	".note.GNU-stack","",@progbits
	.addrsig
	.addrsig_sym __hip_cuid_e670bbf644352a64
	.amdgpu_metadata
---
amdhsa.kernels:
  - .args:
      - .actual_access:  read_only
        .address_space:  global
        .offset:         0
        .size:           8
        .value_kind:     global_buffer
      - .offset:         8
        .size:           8
        .value_kind:     by_value
      - .actual_access:  read_only
        .address_space:  global
        .offset:         16
        .size:           8
        .value_kind:     global_buffer
      - .actual_access:  read_only
        .address_space:  global
        .offset:         24
        .size:           8
        .value_kind:     global_buffer
      - .offset:         32
        .size:           8
        .value_kind:     by_value
      - .actual_access:  read_only
        .address_space:  global
        .offset:         40
        .size:           8
        .value_kind:     global_buffer
      - .actual_access:  read_only
        .address_space:  global
        .offset:         48
        .size:           8
        .value_kind:     global_buffer
      - .offset:         56
        .size:           4
        .value_kind:     by_value
      - .actual_access:  read_only
        .address_space:  global
        .offset:         64
        .size:           8
        .value_kind:     global_buffer
      - .actual_access:  read_only
        .address_space:  global
        .offset:         72
        .size:           8
        .value_kind:     global_buffer
      - .address_space:  global
        .offset:         80
        .size:           8
        .value_kind:     global_buffer
    .group_segment_fixed_size: 0
    .kernarg_segment_align: 8
    .kernarg_segment_size: 88
    .language:       OpenCL C
    .language_version:
      - 2
      - 0
    .max_flat_workgroup_size: 120
    .name:           fft_rtc_back_len17_factors_17_wgs_120_tpt_1_dp_ip_CI_unitstride_sbrr_dirReg
    .private_segment_fixed_size: 0
    .sgpr_count:     56
    .sgpr_spill_count: 0
    .symbol:         fft_rtc_back_len17_factors_17_wgs_120_tpt_1_dp_ip_CI_unitstride_sbrr_dirReg.kd
    .uniform_work_group_size: 1
    .uses_dynamic_stack: false
    .vgpr_count:     150
    .vgpr_spill_count: 0
    .wavefront_size: 64
amdhsa.target:   amdgcn-amd-amdhsa--gfx906
amdhsa.version:
  - 1
  - 2
...

	.end_amdgpu_metadata
